;; amdgpu-corpus repo=ROCm/rocFFT kind=compiled arch=gfx906 opt=O3
	.text
	.amdgcn_target "amdgcn-amd-amdhsa--gfx906"
	.amdhsa_code_object_version 6
	.protected	fft_rtc_back_len112_factors_4_7_4_wgs_448_tpt_28_sp_op_CI_CI_sbrc_xy_z_unaligned_dirReg ; -- Begin function fft_rtc_back_len112_factors_4_7_4_wgs_448_tpt_28_sp_op_CI_CI_sbrc_xy_z_unaligned_dirReg
	.globl	fft_rtc_back_len112_factors_4_7_4_wgs_448_tpt_28_sp_op_CI_CI_sbrc_xy_z_unaligned_dirReg
	.p2align	8
	.type	fft_rtc_back_len112_factors_4_7_4_wgs_448_tpt_28_sp_op_CI_CI_sbrc_xy_z_unaligned_dirReg,@function
fft_rtc_back_len112_factors_4_7_4_wgs_448_tpt_28_sp_op_CI_CI_sbrc_xy_z_unaligned_dirReg: ; @fft_rtc_back_len112_factors_4_7_4_wgs_448_tpt_28_sp_op_CI_CI_sbrc_xy_z_unaligned_dirReg
; %bb.0:
	s_load_dwordx4 s[8:11], s[4:5], 0x10
	s_load_dwordx2 s[16:17], s[4:5], 0x20
	s_mov_b32 s7, 0
	s_mov_b32 s21, s7
	s_waitcnt lgkmcnt(0)
	s_load_dwordx4 s[0:3], s[8:9], 0x8
	s_load_dwordx4 s[12:15], s[10:11], 0x0
	s_load_dwordx2 s[18:19], s[10:11], 0x10
	s_waitcnt lgkmcnt(0)
	s_add_i32 s3, s2, -1
	s_lshr_b32 s3, s3, 4
	s_add_i32 s3, s3, 1
	s_mul_i32 s8, s3, s0
	v_cvt_f32_u32_e32 v1, s8
	s_sub_i32 s3, 0, s8
	v_rcp_iflag_f32_e32 v1, v1
	v_mul_f32_e32 v1, 0x4f7ffffe, v1
	v_cvt_u32_f32_e32 v3, v1
	v_mov_b32_e32 v2, s1
	v_mov_b32_e32 v1, s0
	v_readfirstlane_b32 s9, v3
	s_mul_i32 s3, s3, s9
	s_mul_hi_u32 s3, s9, s3
	s_add_i32 s9, s9, s3
	s_mul_hi_u32 s3, s6, s9
	s_mul_i32 s9, s3, s8
	s_sub_i32 s9, s6, s9
	s_add_i32 s15, s3, 1
	s_sub_i32 s19, s9, s8
	s_cmp_ge_u32 s9, s8
	s_cselect_b32 s3, s15, s3
	s_cselect_b32 s9, s19, s9
	s_add_i32 s15, s3, 1
	s_cmp_ge_u32 s9, s8
	s_cselect_b32 s3, s15, s3
	s_mul_i32 s8, s3, s8
	s_sub_i32 s20, s6, s8
	v_cmp_lt_u64_e32 vcc, s[20:21], v[1:2]
	v_cvt_f32_u32_e32 v1, s0
	s_mov_b64 s[8:9], 0
	s_cbranch_vccnz .LBB0_2
; %bb.1:
	v_rcp_iflag_f32_e32 v2, v1
	s_sub_i32 s8, 0, s0
	v_mul_f32_e32 v2, 0x4f7ffffe, v2
	v_cvt_u32_f32_e32 v2, v2
	v_readfirstlane_b32 s9, v2
	s_mul_i32 s8, s8, s9
	s_mul_hi_u32 s8, s9, s8
	s_add_i32 s9, s9, s8
	s_mul_hi_u32 s8, s20, s9
	s_mul_i32 s15, s8, s0
	s_sub_i32 s15, s20, s15
	s_add_i32 s9, s8, 1
	s_sub_i32 s19, s15, s0
	s_cmp_ge_u32 s15, s0
	s_cselect_b32 s8, s9, s8
	s_cselect_b32 s15, s19, s15
	s_add_i32 s9, s8, 1
	s_cmp_ge_u32 s15, s0
	s_cselect_b32 s8, s9, s8
.LBB0_2:
	s_load_dwordx2 s[20:21], s[4:5], 0x58
	v_mov_b32_e32 v3, s1
	v_mov_b32_e32 v2, s0
	v_cmp_lt_u64_e32 vcc, s[6:7], v[2:3]
	s_cbranch_vccnz .LBB0_4
; %bb.3:
	v_rcp_iflag_f32_e32 v1, v1
	s_sub_i32 s1, 0, s0
	v_mul_f32_e32 v1, 0x4f7ffffe, v1
	v_cvt_u32_f32_e32 v1, v1
	v_readfirstlane_b32 s7, v1
	s_mul_i32 s1, s1, s7
	s_mul_hi_u32 s1, s7, s1
	s_add_i32 s7, s7, s1
	s_mul_hi_u32 s1, s6, s7
	s_mul_i32 s1, s1, s0
	s_sub_i32 s1, s6, s1
	s_sub_i32 s6, s1, s0
	s_cmp_ge_u32 s1, s0
	s_cselect_b32 s1, s6, s1
	s_sub_i32 s6, s1, s0
	s_cmp_ge_u32 s1, s0
	s_cselect_b32 s6, s6, s1
.LBB0_4:
	s_load_dwordx2 s[0:1], s[4:5], 0x8
	s_lshl_b32 s7, s8, 4
	s_mul_i32 s9, s6, s14
	s_mul_i32 s8, s7, s18
	s_add_i32 s19, s9, s8
	s_waitcnt lgkmcnt(0)
	s_lshl_b64 s[14:15], s[0:1], 3
	s_add_u32 s22, s10, s14
	s_addc_u32 s23, s11, s15
	s_load_dwordx2 s[24:25], s[22:23], 0x0
	s_load_dwordx4 s[8:11], s[16:17], 0x0
	s_load_dwordx2 s[0:1], s[16:17], 0x10
	v_mul_u32_u24_e32 v1, 0x24a, v0
	v_lshrrev_b32_e32 v3, 16, v1
	s_waitcnt lgkmcnt(0)
	s_mul_i32 s1, s25, s3
	s_mul_hi_u32 s11, s24, s3
	s_mul_i32 s22, s24, s3
	s_add_i32 s11, s11, s1
	s_add_u32 s22, s22, s19
	s_addc_u32 s23, s11, 0
	s_add_u32 s14, s16, s14
	s_addc_u32 s15, s17, s15
	s_load_dwordx2 s[14:15], s[14:15], 0x0
	s_add_i32 s1, s7, 16
	s_cmp_le_u32 s1, s2
	s_cselect_b64 s[16:17], -1, 0
	v_mul_lo_u16_e32 v1, 0x70, v3
	v_sub_u16_e32 v4, v0, v1
	s_mov_b64 s[24:25], -1
	s_and_b64 vcc, exec, s[16:17]
	s_cbranch_vccnz .LBB0_9
; %bb.5:
	v_or_b32_e32 v5, s7, v3
	v_cmp_gt_u32_e32 vcc, s2, v5
	s_and_saveexec_b64 s[24:25], vcc
	s_cbranch_execz .LBB0_8
; %bb.6:
	v_mad_u64_u32 v[1:2], s[26:27], s12, v4, 0
	s_lshl_b64 s[26:27], s[22:23], 3
	s_add_u32 s1, s20, s26
	v_mad_u64_u32 v[6:7], s[28:29], s13, v4, v[2:3]
	s_addc_u32 s11, s21, s27
	v_mov_b32_e32 v7, s11
	v_mov_b32_e32 v2, v6
	v_lshlrev_b64 v[1:2], 3, v[1:2]
	s_lshl_b32 s11, s18, 2
	v_add_co_u32_e32 v6, vcc, s1, v1
	v_lshlrev_b32_e32 v1, 3, v3
	v_lshl_or_b32 v1, v4, 7, v1
	v_add_u32_e32 v8, 0, v1
	v_mul_lo_u32 v1, v3, s18
	v_addc_co_u32_e32 v7, vcc, v7, v2, vcc
	s_mov_b32 s1, 0
	s_mov_b64 s[26:27], 0
	v_mov_b32_e32 v2, 0
.LBB0_7:                                ; =>This Inner Loop Header: Depth=1
	v_lshlrev_b64 v[9:10], 3, v[1:2]
	s_add_i32 s1, s1, 4
	v_add_co_u32_e32 v9, vcc, v6, v9
	v_addc_co_u32_e32 v10, vcc, v7, v10, vcc
	global_load_dwordx2 v[9:10], v[9:10], off
	v_add_u32_e32 v11, s1, v5
	v_cmp_le_u32_e32 vcc, s2, v11
	v_add_u32_e32 v1, s11, v1
	s_or_b64 s[26:27], vcc, s[26:27]
	s_waitcnt vmcnt(0)
	ds_write_b64 v8, v[9:10]
	v_add_u32_e32 v8, 32, v8
	s_andn2_b64 exec, exec, s[26:27]
	s_cbranch_execnz .LBB0_7
.LBB0_8:
	s_or_b64 exec, exec, s[24:25]
	s_mov_b64 s[24:25], 0
.LBB0_9:
	s_andn2_b64 vcc, exec, s[24:25]
	s_cbranch_vccnz .LBB0_11
; %bb.10:
	v_mad_u64_u32 v[1:2], s[24:25], s12, v4, 0
	v_mul_lo_u32 v5, s18, v3
	v_mov_b32_e32 v6, 0
	v_mad_u64_u32 v[7:8], s[12:13], s13, v4, v[2:3]
	s_lshl_b64 s[12:13], s[22:23], 3
	s_add_u32 s1, s20, s12
	v_mov_b32_e32 v2, v7
	v_lshlrev_b64 v[1:2], 3, v[1:2]
	s_addc_u32 s11, s21, s13
	v_mov_b32_e32 v7, s11
	v_add_co_u32_e32 v11, vcc, s1, v1
	v_addc_co_u32_e32 v12, vcc, v7, v2, vcc
	v_lshlrev_b64 v[1:2], 3, v[5:6]
	s_lshl_b32 s1, s18, 2
	v_add_u32_e32 v5, s1, v5
	v_add_co_u32_e32 v1, vcc, v11, v1
	v_lshlrev_b64 v[7:8], 3, v[5:6]
	v_addc_co_u32_e32 v2, vcc, v12, v2, vcc
	v_add_u32_e32 v5, s1, v5
	v_add_co_u32_e32 v7, vcc, v11, v7
	v_lshlrev_b64 v[9:10], 3, v[5:6]
	v_addc_co_u32_e32 v8, vcc, v12, v8, vcc
	;; [unrolled: 4-line block ×3, first 2 shown]
	v_add_co_u32_e32 v5, vcc, v11, v5
	v_addc_co_u32_e32 v6, vcc, v12, v6, vcc
	global_load_dwordx2 v[11:12], v[1:2], off
	global_load_dwordx2 v[13:14], v[7:8], off
	;; [unrolled: 1-line block ×4, first 2 shown]
	v_lshlrev_b32_e32 v1, 7, v4
	v_lshlrev_b32_e32 v2, 3, v3
	v_or_b32_e32 v3, v1, v2
	v_add3_u32 v1, 0, v1, v2
	v_add_u32_e32 v2, 0, v3
	s_waitcnt vmcnt(3)
	ds_write_b64 v2, v[11:12]
	s_waitcnt vmcnt(1)
	ds_write2_b64 v1, v[13:14], v[15:16] offset0:4 offset1:8
	s_waitcnt vmcnt(0)
	ds_write_b64 v1, v[17:18] offset:96
.LBB0_11:
	v_and_b32_e32 v15, 15, v0
	v_lshrrev_b32_e32 v17, 4, v0
	v_lshlrev_b32_e32 v1, 7, v17
	v_lshlrev_b32_e32 v18, 3, v15
	v_add3_u32 v16, 0, v1, v18
	s_waitcnt lgkmcnt(0)
	s_barrier
	ds_read2st64_b64 v[1:4], v16 offset1:7
	ds_read2st64_b64 v[5:8], v16 offset0:14 offset1:21
	s_load_dwordx2 s[12:13], s[4:5], 0x0
	s_movk_i32 s1, 0x180
	s_waitcnt lgkmcnt(0)
	s_barrier
	v_sub_f32_e32 v9, v1, v5
	v_sub_f32_e32 v10, v2, v6
	;; [unrolled: 1-line block ×4, first 2 shown]
	v_fma_f32 v1, v1, 2.0, -v9
	v_fma_f32 v2, v2, 2.0, -v10
	;; [unrolled: 1-line block ×4, first 2 shown]
	v_add_f32_e32 v7, v9, v7
	v_sub_f32_e32 v5, v1, v3
	v_sub_f32_e32 v6, v2, v4
	;; [unrolled: 1-line block ×3, first 2 shown]
	v_fma_f32 v3, v9, 2.0, -v7
	v_mad_u32_u24 v9, v17, s1, v16
	s_movk_i32 s1, 0x100
	v_fma_f32 v1, v1, 2.0, -v5
	v_fma_f32 v2, v2, 2.0, -v6
	;; [unrolled: 1-line block ×3, first 2 shown]
	v_cmp_gt_u32_e32 vcc, s1, v0
	ds_write2_b64 v9, v[1:2], v[3:4] offset1:16
	ds_write2_b64 v9, v[5:6], v[7:8] offset0:32 offset1:48
	s_waitcnt lgkmcnt(0)
	s_barrier
	s_waitcnt lgkmcnt(0)
                                        ; implicit-def: $vgpr14
                                        ; implicit-def: $vgpr12
	s_and_saveexec_b64 s[18:19], vcc
	s_cbranch_execz .LBB0_13
; %bb.12:
	v_and_b32_e32 v1, 0xf0, v0
	v_lshlrev_b32_e32 v1, 3, v1
	v_add3_u32 v13, 0, v1, v18
	ds_read2st64_b64 v[1:4], v13 offset1:4
	ds_read2st64_b64 v[5:8], v13 offset0:8 offset1:12
	ds_read2st64_b64 v[9:12], v13 offset0:16 offset1:20
	ds_read_b64 v[13:14], v13 offset:12288
.LBB0_13:
	s_or_b64 exec, exec, s[18:19]
	s_waitcnt lgkmcnt(0)
	s_barrier
	s_and_saveexec_b64 s[18:19], vcc
	s_cbranch_execz .LBB0_15
; %bb.14:
	v_bfe_u32 v19, v0, 4, 2
	v_mul_u32_u24_e32 v20, 6, v19
	v_lshlrev_b32_e32 v32, 3, v20
	global_load_dwordx4 v[20:23], v32, s[12:13] offset:32
	global_load_dwordx4 v[24:27], v32, s[12:13] offset:16
	global_load_dwordx4 v[28:31], v32, s[12:13]
	s_mov_b32 s20, 0x3eae86e6
	s_mov_b32 s11, 0xbf3bfb3b
	;; [unrolled: 1-line block ×3, first 2 shown]
	s_waitcnt vmcnt(2)
	v_mul_f32_e32 v32, v14, v23
	v_mul_f32_e32 v23, v13, v23
	;; [unrolled: 1-line block ×3, first 2 shown]
	v_fmac_f32_e32 v32, v13, v22
	v_fma_f32 v13, v14, v22, -v23
	v_mul_f32_e32 v14, v11, v21
	s_waitcnt vmcnt(1)
	v_mul_f32_e32 v21, v10, v27
	v_fmac_f32_e32 v33, v11, v20
	v_fma_f32 v11, v12, v20, -v14
	v_mul_f32_e32 v12, v9, v27
	v_mul_f32_e32 v14, v8, v25
	s_waitcnt vmcnt(0)
	v_mul_f32_e32 v22, v6, v31
	v_fmac_f32_e32 v21, v9, v26
	v_fma_f32 v9, v10, v26, -v12
	v_mul_f32_e32 v10, v5, v31
	v_mul_f32_e32 v12, v4, v29
	;; [unrolled: 1-line block ×4, first 2 shown]
	v_fmac_f32_e32 v14, v7, v24
	v_fmac_f32_e32 v22, v5, v30
	v_fma_f32 v5, v6, v30, -v10
	v_fmac_f32_e32 v12, v3, v28
	v_fma_f32 v3, v4, v28, -v23
	v_fma_f32 v7, v8, v24, -v20
	v_sub_f32_e32 v4, v12, v32
	v_sub_f32_e32 v6, v21, v14
	;; [unrolled: 1-line block ×3, first 2 shown]
	v_add_f32_e32 v10, v3, v13
	v_add_f32_e32 v12, v12, v32
	v_add_f32_e32 v23, v5, v11
	v_add_f32_e32 v14, v14, v21
	v_add_f32_e32 v21, v22, v33
	v_add_f32_e32 v20, v7, v9
	v_sub_f32_e32 v3, v3, v13
	v_sub_f32_e32 v7, v9, v7
	;; [unrolled: 1-line block ×3, first 2 shown]
	v_add_f32_e32 v11, v23, v10
	v_add_f32_e32 v13, v21, v12
	v_sub_f32_e32 v22, v6, v8
	v_sub_f32_e32 v9, v4, v6
	v_add_f32_e32 v6, v6, v8
	v_sub_f32_e32 v24, v10, v20
	v_sub_f32_e32 v25, v20, v23
	;; [unrolled: 1-line block ×7, first 2 shown]
	v_add_f32_e32 v7, v7, v5
	v_sub_f32_e32 v8, v8, v4
	v_add_f32_e32 v11, v20, v11
	v_add_f32_e32 v13, v14, v13
	v_mul_f32_e32 v14, 0x3f08b237, v22
	v_sub_f32_e32 v5, v5, v3
	v_add_f32_e32 v6, v6, v4
	v_mul_f32_e32 v4, 0x3f4a47b2, v24
	v_add_f32_e32 v7, v7, v3
	v_mul_f32_e32 v3, 0xbf5ff5aa, v8
	v_add_f32_e32 v2, v2, v11
	v_mov_b32_e32 v24, v14
	v_sub_f32_e32 v12, v21, v12
	v_mul_f32_e32 v20, 0x3d64c772, v25
	v_mul_f32_e32 v21, 0x3f4a47b2, v26
	;; [unrolled: 1-line block ×4, first 2 shown]
	v_add_f32_e32 v1, v1, v13
	v_fma_f32 v26, v9, s20, -v3
	v_fmac_f32_e32 v24, 0xbeae86e6, v9
	v_mov_b32_e32 v9, v2
	v_fma_f32 v3, v10, s1, -v20
	v_fma_f32 v10, v10, s11, -v4
	v_mov_b32_e32 v20, v22
	v_fma_f32 v23, v28, s20, -v23
	v_fmac_f32_e32 v4, 0x3d64c772, v25
	v_mov_b32_e32 v25, v1
	v_fmac_f32_e32 v9, 0xbf955555, v11
	s_mov_b32 s20, 0xbf5ff5aa
	v_fmac_f32_e32 v20, 0xbeae86e6, v28
	v_fmac_f32_e32 v25, 0xbf955555, v13
	v_add_f32_e32 v13, v4, v9
	v_add_f32_e32 v11, v10, v9
	;; [unrolled: 1-line block ×3, first 2 shown]
	v_fma_f32 v10, v8, s20, -v14
	v_mov_b32_e32 v3, v21
	v_mul_f32_e32 v8, 0x3d64c772, v27
	v_fma_f32 v14, v5, s20, -v22
	v_fmac_f32_e32 v3, 0x3d64c772, v27
	v_fmac_f32_e32 v20, 0xbee1c552, v7
	;; [unrolled: 1-line block ×4, first 2 shown]
	v_fma_f32 v7, v12, s1, -v8
	v_fmac_f32_e32 v24, 0xbee1c552, v6
	v_add_f32_e32 v27, v3, v25
	v_fmac_f32_e32 v10, 0xbee1c552, v6
	v_fma_f32 v5, v12, s11, -v21
	v_add_f32_e32 v12, v7, v25
	v_add_f32_e32 v4, v24, v13
	v_sub_f32_e32 v3, v27, v20
	v_sub_f32_e32 v8, v9, v10
	v_add_f32_e32 v7, v14, v12
	v_add_f32_e32 v10, v10, v9
	v_sub_f32_e32 v9, v12, v14
	v_sub_f32_e32 v14, v13, v24
	v_add_f32_e32 v13, v20, v27
	v_lshrrev_b32_e32 v20, 6, v0
	v_mul_u32_u24_e32 v20, 28, v20
	v_or_b32_e32 v19, v20, v19
	v_lshlrev_b32_e32 v19, 7, v19
	v_fmac_f32_e32 v26, 0xbee1c552, v6
	v_add_f32_e32 v21, v5, v25
	v_add3_u32 v18, 0, v19, v18
	v_add_f32_e32 v6, v26, v11
	v_sub_f32_e32 v5, v21, v23
	v_sub_f32_e32 v12, v11, v26
	v_add_f32_e32 v11, v23, v21
	ds_write2st64_b64 v18, v[1:2], v[13:14] offset1:1
	ds_write2st64_b64 v18, v[11:12], v[9:10] offset0:2 offset1:3
	ds_write2st64_b64 v18, v[7:8], v[5:6] offset0:4 offset1:5
	ds_write_b64 v18, v[3:4] offset:3072
.LBB0_15:
	s_or_b64 exec, exec, s[18:19]
	v_or_b32_e32 v1, s7, v15
	v_cmp_gt_u32_e32 vcc, s2, v1
	s_or_b64 s[16:17], s[16:17], vcc
	s_waitcnt lgkmcnt(0)
	s_barrier
	s_and_saveexec_b64 s[18:19], s[16:17]
	s_cbranch_execz .LBB0_17
; %bb.16:
	s_mov_b32 s1, 0x924924a
	v_mul_hi_u32 v1, v17, s1
	s_load_dwordx2 s[4:5], s[4:5], 0x60
	s_mul_i32 s11, s9, s7
	s_mul_hi_u32 s16, s8, s7
	v_mul_u32_u24_e32 v1, 28, v1
	v_sub_u32_e32 v20, v17, v1
	v_mul_u32_u24_e32 v1, 3, v20
	v_lshlrev_b32_e32 v5, 3, v1
	global_load_dwordx2 v[13:14], v5, s[12:13] offset:208
	global_load_dwordx4 v[1:4], v5, s[12:13] offset:192
	ds_read2st64_b64 v[5:8], v16 offset1:7
	ds_read2st64_b64 v[9:12], v16 offset0:14 offset1:21
	v_mad_u64_u32 v[16:17], s[12:13], s8, v15, 0
	s_mul_i32 s0, s6, s0
	s_mul_i32 s2, s8, s7
	;; [unrolled: 1-line block ×3, first 2 shown]
	s_mul_hi_u32 s15, s14, s3
	s_mul_i32 s6, s14, s3
	s_add_i32 s3, s16, s11
	v_mul_hi_u32_u24_e32 v21, 0x924925, v0
	s_add_i32 s7, s15, s7
	s_lshl_b64 s[2:3], s[2:3], 3
	v_mov_b32_e32 v0, v17
	s_mov_b32 s1, 0
	s_waitcnt lgkmcnt(0)
	s_add_u32 s2, s4, s2
	s_movk_i32 s12, 0x70
	s_addc_u32 s3, s5, s3
	s_lshl_b64 s[0:1], s[0:1], 3
	s_add_u32 s2, s2, s0
	s_addc_u32 s3, s3, s1
	s_lshl_b64 s[0:1], s[6:7], 3
	s_add_u32 s0, s2, s0
	s_addc_u32 s1, s3, s1
	v_mov_b32_e32 v19, 0
	s_mul_i32 s13, s10, 28
	s_waitcnt vmcnt(0)
	v_mad_u64_u32 v[17:18], s[8:9], s9, v15, v[0:1]
	v_mad_u32_u24 v0, v21, s12, v20
	v_mul_lo_u32 v18, v0, s10
	v_lshlrev_b64 v[15:16], 3, v[16:17]
	v_mov_b32_e32 v0, s1
	v_add_co_u32_e32 v17, vcc, s0, v15
	v_addc_co_u32_e32 v24, vcc, v0, v16, vcc
	v_lshlrev_b64 v[15:16], 3, v[18:19]
	v_add_u32_e32 v18, s13, v18
	v_mul_f32_e32 v0, v14, v12
	v_mul_f32_e32 v14, v14, v11
	;; [unrolled: 1-line block ×6, first 2 shown]
	v_lshlrev_b64 v[20:21], 3, v[18:19]
	v_add_co_u32_e32 v15, vcc, v17, v15
	v_fmac_f32_e32 v0, v13, v11
	v_fma_f32 v11, v13, v12, -v14
	v_fma_f32 v10, v3, v10, -v25
	v_fmac_f32_e32 v4, v3, v9
	v_fmac_f32_e32 v26, v1, v7
	v_fma_f32 v2, v1, v8, -v2
	v_add_u32_e32 v18, s13, v18
	v_addc_co_u32_e32 v16, vcc, v24, v16, vcc
	v_sub_f32_e32 v3, v6, v10
	v_sub_f32_e32 v7, v26, v0
	;; [unrolled: 1-line block ×4, first 2 shown]
	v_lshlrev_b64 v[22:23], 3, v[18:19]
	v_add_co_u32_e32 v20, vcc, v17, v20
	v_sub_f32_e32 v1, v3, v7
	v_add_f32_e32 v0, v4, v8
	v_fma_f32 v6, v6, 2.0, -v3
	v_fma_f32 v8, v2, 2.0, -v8
	;; [unrolled: 1-line block ×4, first 2 shown]
	v_addc_co_u32_e32 v21, vcc, v24, v21, vcc
	v_fma_f32 v2, v4, 2.0, -v0
	v_sub_f32_e32 v5, v6, v8
	v_sub_f32_e32 v4, v9, v7
	v_add_co_u32_e32 v22, vcc, v17, v22
	v_fma_f32 v3, v3, 2.0, -v1
	v_fma_f32 v7, v6, 2.0, -v5
	;; [unrolled: 1-line block ×3, first 2 shown]
	v_add_u32_e32 v18, s13, v18
	v_addc_co_u32_e32 v23, vcc, v24, v23, vcc
	global_store_dwordx2 v[15:16], v[6:7], off
	global_store_dwordx2 v[20:21], v[2:3], off
	;; [unrolled: 1-line block ×3, first 2 shown]
	v_lshlrev_b64 v[2:3], 3, v[18:19]
	v_add_co_u32_e32 v2, vcc, v17, v2
	v_addc_co_u32_e32 v3, vcc, v24, v3, vcc
	global_store_dwordx2 v[2:3], v[0:1], off
.LBB0_17:
	s_endpgm
	.section	.rodata,"a",@progbits
	.p2align	6, 0x0
	.amdhsa_kernel fft_rtc_back_len112_factors_4_7_4_wgs_448_tpt_28_sp_op_CI_CI_sbrc_xy_z_unaligned_dirReg
		.amdhsa_group_segment_fixed_size 0
		.amdhsa_private_segment_fixed_size 0
		.amdhsa_kernarg_size 104
		.amdhsa_user_sgpr_count 6
		.amdhsa_user_sgpr_private_segment_buffer 1
		.amdhsa_user_sgpr_dispatch_ptr 0
		.amdhsa_user_sgpr_queue_ptr 0
		.amdhsa_user_sgpr_kernarg_segment_ptr 1
		.amdhsa_user_sgpr_dispatch_id 0
		.amdhsa_user_sgpr_flat_scratch_init 0
		.amdhsa_user_sgpr_private_segment_size 0
		.amdhsa_uses_dynamic_stack 0
		.amdhsa_system_sgpr_private_segment_wavefront_offset 0
		.amdhsa_system_sgpr_workgroup_id_x 1
		.amdhsa_system_sgpr_workgroup_id_y 0
		.amdhsa_system_sgpr_workgroup_id_z 0
		.amdhsa_system_sgpr_workgroup_info 0
		.amdhsa_system_vgpr_workitem_id 0
		.amdhsa_next_free_vgpr 34
		.amdhsa_next_free_sgpr 30
		.amdhsa_reserve_vcc 1
		.amdhsa_reserve_flat_scratch 0
		.amdhsa_float_round_mode_32 0
		.amdhsa_float_round_mode_16_64 0
		.amdhsa_float_denorm_mode_32 3
		.amdhsa_float_denorm_mode_16_64 3
		.amdhsa_dx10_clamp 1
		.amdhsa_ieee_mode 1
		.amdhsa_fp16_overflow 0
		.amdhsa_exception_fp_ieee_invalid_op 0
		.amdhsa_exception_fp_denorm_src 0
		.amdhsa_exception_fp_ieee_div_zero 0
		.amdhsa_exception_fp_ieee_overflow 0
		.amdhsa_exception_fp_ieee_underflow 0
		.amdhsa_exception_fp_ieee_inexact 0
		.amdhsa_exception_int_div_zero 0
	.end_amdhsa_kernel
	.text
.Lfunc_end0:
	.size	fft_rtc_back_len112_factors_4_7_4_wgs_448_tpt_28_sp_op_CI_CI_sbrc_xy_z_unaligned_dirReg, .Lfunc_end0-fft_rtc_back_len112_factors_4_7_4_wgs_448_tpt_28_sp_op_CI_CI_sbrc_xy_z_unaligned_dirReg
                                        ; -- End function
	.section	.AMDGPU.csdata,"",@progbits
; Kernel info:
; codeLenInByte = 2480
; NumSgprs: 34
; NumVgprs: 34
; ScratchSize: 0
; MemoryBound: 0
; FloatMode: 240
; IeeeMode: 1
; LDSByteSize: 0 bytes/workgroup (compile time only)
; SGPRBlocks: 4
; VGPRBlocks: 8
; NumSGPRsForWavesPerEU: 34
; NumVGPRsForWavesPerEU: 34
; Occupancy: 7
; WaveLimiterHint : 1
; COMPUTE_PGM_RSRC2:SCRATCH_EN: 0
; COMPUTE_PGM_RSRC2:USER_SGPR: 6
; COMPUTE_PGM_RSRC2:TRAP_HANDLER: 0
; COMPUTE_PGM_RSRC2:TGID_X_EN: 1
; COMPUTE_PGM_RSRC2:TGID_Y_EN: 0
; COMPUTE_PGM_RSRC2:TGID_Z_EN: 0
; COMPUTE_PGM_RSRC2:TIDIG_COMP_CNT: 0
	.type	__hip_cuid_ac1f3daf6010251f,@object ; @__hip_cuid_ac1f3daf6010251f
	.section	.bss,"aw",@nobits
	.globl	__hip_cuid_ac1f3daf6010251f
__hip_cuid_ac1f3daf6010251f:
	.byte	0                               ; 0x0
	.size	__hip_cuid_ac1f3daf6010251f, 1

	.ident	"AMD clang version 19.0.0git (https://github.com/RadeonOpenCompute/llvm-project roc-6.4.0 25133 c7fe45cf4b819c5991fe208aaa96edf142730f1d)"
	.section	".note.GNU-stack","",@progbits
	.addrsig
	.addrsig_sym __hip_cuid_ac1f3daf6010251f
	.amdgpu_metadata
---
amdhsa.kernels:
  - .args:
      - .actual_access:  read_only
        .address_space:  global
        .offset:         0
        .size:           8
        .value_kind:     global_buffer
      - .offset:         8
        .size:           8
        .value_kind:     by_value
      - .actual_access:  read_only
        .address_space:  global
        .offset:         16
        .size:           8
        .value_kind:     global_buffer
      - .actual_access:  read_only
        .address_space:  global
        .offset:         24
        .size:           8
        .value_kind:     global_buffer
      - .actual_access:  read_only
        .address_space:  global
        .offset:         32
        .size:           8
        .value_kind:     global_buffer
      - .offset:         40
        .size:           8
        .value_kind:     by_value
      - .actual_access:  read_only
        .address_space:  global
        .offset:         48
        .size:           8
        .value_kind:     global_buffer
      - .actual_access:  read_only
        .address_space:  global
        .offset:         56
        .size:           8
        .value_kind:     global_buffer
      - .offset:         64
        .size:           4
        .value_kind:     by_value
      - .actual_access:  read_only
        .address_space:  global
        .offset:         72
        .size:           8
        .value_kind:     global_buffer
      - .actual_access:  read_only
        .address_space:  global
        .offset:         80
        .size:           8
        .value_kind:     global_buffer
      - .actual_access:  read_only
        .address_space:  global
        .offset:         88
        .size:           8
        .value_kind:     global_buffer
      - .actual_access:  write_only
        .address_space:  global
        .offset:         96
        .size:           8
        .value_kind:     global_buffer
    .group_segment_fixed_size: 0
    .kernarg_segment_align: 8
    .kernarg_segment_size: 104
    .language:       OpenCL C
    .language_version:
      - 2
      - 0
    .max_flat_workgroup_size: 448
    .name:           fft_rtc_back_len112_factors_4_7_4_wgs_448_tpt_28_sp_op_CI_CI_sbrc_xy_z_unaligned_dirReg
    .private_segment_fixed_size: 0
    .sgpr_count:     34
    .sgpr_spill_count: 0
    .symbol:         fft_rtc_back_len112_factors_4_7_4_wgs_448_tpt_28_sp_op_CI_CI_sbrc_xy_z_unaligned_dirReg.kd
    .uniform_work_group_size: 1
    .uses_dynamic_stack: false
    .vgpr_count:     34
    .vgpr_spill_count: 0
    .wavefront_size: 64
amdhsa.target:   amdgcn-amd-amdhsa--gfx906
amdhsa.version:
  - 1
  - 2
...

	.end_amdgpu_metadata
